;; amdgpu-corpus repo=ROCm/rocFFT kind=compiled arch=gfx1030 opt=O3
	.text
	.amdgcn_target "amdgcn-amd-amdhsa--gfx1030"
	.amdhsa_code_object_version 6
	.protected	fft_rtc_fwd_len770_factors_11_10_7_wgs_220_tpt_110_dp_ip_CI_unitstride_sbrr_R2C_dirReg ; -- Begin function fft_rtc_fwd_len770_factors_11_10_7_wgs_220_tpt_110_dp_ip_CI_unitstride_sbrr_R2C_dirReg
	.globl	fft_rtc_fwd_len770_factors_11_10_7_wgs_220_tpt_110_dp_ip_CI_unitstride_sbrr_R2C_dirReg
	.p2align	8
	.type	fft_rtc_fwd_len770_factors_11_10_7_wgs_220_tpt_110_dp_ip_CI_unitstride_sbrr_R2C_dirReg,@function
fft_rtc_fwd_len770_factors_11_10_7_wgs_220_tpt_110_dp_ip_CI_unitstride_sbrr_R2C_dirReg: ; @fft_rtc_fwd_len770_factors_11_10_7_wgs_220_tpt_110_dp_ip_CI_unitstride_sbrr_R2C_dirReg
; %bb.0:
	s_clause 0x2
	s_load_dwordx4 s[8:11], s[4:5], 0x0
	s_load_dwordx2 s[2:3], s[4:5], 0x50
	s_load_dwordx2 s[12:13], s[4:5], 0x18
	v_mul_u32_u24_e32 v1, 0x254, v0
	v_mov_b32_e32 v3, 0
	v_lshrrev_b32_e32 v9, 16, v1
	v_mov_b32_e32 v1, 0
	v_mov_b32_e32 v6, v3
	v_mov_b32_e32 v2, 0
	v_lshl_add_u32 v5, s6, 1, v9
	s_waitcnt lgkmcnt(0)
	v_cmp_lt_u64_e64 s0, s[10:11], 2
	s_and_b32 vcc_lo, exec_lo, s0
	s_cbranch_vccnz .LBB0_8
; %bb.1:
	s_load_dwordx2 s[0:1], s[4:5], 0x10
	v_mov_b32_e32 v1, 0
	s_add_u32 s6, s12, 8
	v_mov_b32_e32 v2, 0
	s_addc_u32 s7, s13, 0
	s_mov_b64 s[16:17], 1
	s_waitcnt lgkmcnt(0)
	s_add_u32 s14, s0, 8
	s_addc_u32 s15, s1, 0
.LBB0_2:                                ; =>This Inner Loop Header: Depth=1
	s_load_dwordx2 s[18:19], s[14:15], 0x0
                                        ; implicit-def: $vgpr7_vgpr8
	s_mov_b32 s0, exec_lo
	s_waitcnt lgkmcnt(0)
	v_or_b32_e32 v4, s19, v6
	v_cmpx_ne_u64_e32 0, v[3:4]
	s_xor_b32 s1, exec_lo, s0
	s_cbranch_execz .LBB0_4
; %bb.3:                                ;   in Loop: Header=BB0_2 Depth=1
	v_cvt_f32_u32_e32 v4, s18
	v_cvt_f32_u32_e32 v7, s19
	s_sub_u32 s0, 0, s18
	s_subb_u32 s20, 0, s19
	v_fmac_f32_e32 v4, 0x4f800000, v7
	v_rcp_f32_e32 v4, v4
	v_mul_f32_e32 v4, 0x5f7ffffc, v4
	v_mul_f32_e32 v7, 0x2f800000, v4
	v_trunc_f32_e32 v7, v7
	v_fmac_f32_e32 v4, 0xcf800000, v7
	v_cvt_u32_f32_e32 v7, v7
	v_cvt_u32_f32_e32 v4, v4
	v_mul_lo_u32 v8, s0, v7
	v_mul_hi_u32 v10, s0, v4
	v_mul_lo_u32 v11, s20, v4
	v_add_nc_u32_e32 v8, v10, v8
	v_mul_lo_u32 v10, s0, v4
	v_add_nc_u32_e32 v8, v8, v11
	v_mul_hi_u32 v11, v4, v10
	v_mul_lo_u32 v12, v4, v8
	v_mul_hi_u32 v13, v4, v8
	v_mul_hi_u32 v14, v7, v10
	v_mul_lo_u32 v10, v7, v10
	v_mul_hi_u32 v15, v7, v8
	v_mul_lo_u32 v8, v7, v8
	v_add_co_u32 v11, vcc_lo, v11, v12
	v_add_co_ci_u32_e32 v12, vcc_lo, 0, v13, vcc_lo
	v_add_co_u32 v10, vcc_lo, v11, v10
	v_add_co_ci_u32_e32 v10, vcc_lo, v12, v14, vcc_lo
	v_add_co_ci_u32_e32 v11, vcc_lo, 0, v15, vcc_lo
	v_add_co_u32 v8, vcc_lo, v10, v8
	v_add_co_ci_u32_e32 v10, vcc_lo, 0, v11, vcc_lo
	v_add_co_u32 v4, vcc_lo, v4, v8
	v_add_co_ci_u32_e32 v7, vcc_lo, v7, v10, vcc_lo
	v_mul_hi_u32 v8, s0, v4
	v_mul_lo_u32 v11, s20, v4
	v_mul_lo_u32 v10, s0, v7
	v_add_nc_u32_e32 v8, v8, v10
	v_mul_lo_u32 v10, s0, v4
	v_add_nc_u32_e32 v8, v8, v11
	v_mul_hi_u32 v11, v4, v10
	v_mul_lo_u32 v12, v4, v8
	v_mul_hi_u32 v13, v4, v8
	v_mul_hi_u32 v14, v7, v10
	v_mul_lo_u32 v10, v7, v10
	v_mul_hi_u32 v15, v7, v8
	v_mul_lo_u32 v8, v7, v8
	v_add_co_u32 v11, vcc_lo, v11, v12
	v_add_co_ci_u32_e32 v12, vcc_lo, 0, v13, vcc_lo
	v_add_co_u32 v10, vcc_lo, v11, v10
	v_add_co_ci_u32_e32 v10, vcc_lo, v12, v14, vcc_lo
	v_add_co_ci_u32_e32 v11, vcc_lo, 0, v15, vcc_lo
	v_add_co_u32 v8, vcc_lo, v10, v8
	v_add_co_ci_u32_e32 v10, vcc_lo, 0, v11, vcc_lo
	v_add_co_u32 v4, vcc_lo, v4, v8
	v_add_co_ci_u32_e32 v12, vcc_lo, v7, v10, vcc_lo
	v_mul_hi_u32 v14, v5, v4
	v_mad_u64_u32 v[10:11], null, v6, v4, 0
	v_mad_u64_u32 v[7:8], null, v5, v12, 0
	;; [unrolled: 1-line block ×3, first 2 shown]
	v_add_co_u32 v4, vcc_lo, v14, v7
	v_add_co_ci_u32_e32 v7, vcc_lo, 0, v8, vcc_lo
	v_add_co_u32 v4, vcc_lo, v4, v10
	v_add_co_ci_u32_e32 v4, vcc_lo, v7, v11, vcc_lo
	v_add_co_ci_u32_e32 v7, vcc_lo, 0, v13, vcc_lo
	v_add_co_u32 v4, vcc_lo, v4, v12
	v_add_co_ci_u32_e32 v10, vcc_lo, 0, v7, vcc_lo
	v_mul_lo_u32 v11, s19, v4
	v_mad_u64_u32 v[7:8], null, s18, v4, 0
	v_mul_lo_u32 v12, s18, v10
	v_sub_co_u32 v7, vcc_lo, v5, v7
	v_add3_u32 v8, v8, v12, v11
	v_sub_nc_u32_e32 v11, v6, v8
	v_subrev_co_ci_u32_e64 v11, s0, s19, v11, vcc_lo
	v_add_co_u32 v12, s0, v4, 2
	v_add_co_ci_u32_e64 v13, s0, 0, v10, s0
	v_sub_co_u32 v14, s0, v7, s18
	v_sub_co_ci_u32_e32 v8, vcc_lo, v6, v8, vcc_lo
	v_subrev_co_ci_u32_e64 v11, s0, 0, v11, s0
	v_cmp_le_u32_e32 vcc_lo, s18, v14
	v_cmp_eq_u32_e64 s0, s19, v8
	v_cndmask_b32_e64 v14, 0, -1, vcc_lo
	v_cmp_le_u32_e32 vcc_lo, s19, v11
	v_cndmask_b32_e64 v15, 0, -1, vcc_lo
	v_cmp_le_u32_e32 vcc_lo, s18, v7
	;; [unrolled: 2-line block ×3, first 2 shown]
	v_cndmask_b32_e64 v16, 0, -1, vcc_lo
	v_cmp_eq_u32_e32 vcc_lo, s19, v11
	v_cndmask_b32_e64 v7, v16, v7, s0
	v_cndmask_b32_e32 v11, v15, v14, vcc_lo
	v_add_co_u32 v14, vcc_lo, v4, 1
	v_add_co_ci_u32_e32 v15, vcc_lo, 0, v10, vcc_lo
	v_cmp_ne_u32_e32 vcc_lo, 0, v11
	v_cndmask_b32_e32 v8, v15, v13, vcc_lo
	v_cndmask_b32_e32 v11, v14, v12, vcc_lo
	v_cmp_ne_u32_e32 vcc_lo, 0, v7
	v_cndmask_b32_e32 v8, v10, v8, vcc_lo
	v_cndmask_b32_e32 v7, v4, v11, vcc_lo
.LBB0_4:                                ;   in Loop: Header=BB0_2 Depth=1
	s_andn2_saveexec_b32 s0, s1
	s_cbranch_execz .LBB0_6
; %bb.5:                                ;   in Loop: Header=BB0_2 Depth=1
	v_cvt_f32_u32_e32 v4, s18
	s_sub_i32 s1, 0, s18
	v_rcp_iflag_f32_e32 v4, v4
	v_mul_f32_e32 v4, 0x4f7ffffe, v4
	v_cvt_u32_f32_e32 v4, v4
	v_mul_lo_u32 v7, s1, v4
	v_mul_hi_u32 v7, v4, v7
	v_add_nc_u32_e32 v4, v4, v7
	v_mul_hi_u32 v4, v5, v4
	v_mul_lo_u32 v7, v4, s18
	v_add_nc_u32_e32 v8, 1, v4
	v_sub_nc_u32_e32 v7, v5, v7
	v_subrev_nc_u32_e32 v10, s18, v7
	v_cmp_le_u32_e32 vcc_lo, s18, v7
	v_cndmask_b32_e32 v7, v7, v10, vcc_lo
	v_cndmask_b32_e32 v4, v4, v8, vcc_lo
	v_cmp_le_u32_e32 vcc_lo, s18, v7
	v_add_nc_u32_e32 v8, 1, v4
	v_cndmask_b32_e32 v7, v4, v8, vcc_lo
	v_mov_b32_e32 v8, v3
.LBB0_6:                                ;   in Loop: Header=BB0_2 Depth=1
	s_or_b32 exec_lo, exec_lo, s0
	s_load_dwordx2 s[0:1], s[6:7], 0x0
	v_mul_lo_u32 v4, v8, s18
	v_mul_lo_u32 v12, v7, s19
	v_mad_u64_u32 v[10:11], null, v7, s18, 0
	s_add_u32 s16, s16, 1
	s_addc_u32 s17, s17, 0
	s_add_u32 s6, s6, 8
	s_addc_u32 s7, s7, 0
	;; [unrolled: 2-line block ×3, first 2 shown]
	v_add3_u32 v4, v11, v12, v4
	v_sub_co_u32 v5, vcc_lo, v5, v10
	v_sub_co_ci_u32_e32 v4, vcc_lo, v6, v4, vcc_lo
	s_waitcnt lgkmcnt(0)
	v_mul_lo_u32 v6, s1, v5
	v_mul_lo_u32 v4, s0, v4
	v_mad_u64_u32 v[1:2], null, s0, v5, v[1:2]
	v_cmp_ge_u64_e64 s0, s[16:17], s[10:11]
	s_and_b32 vcc_lo, exec_lo, s0
	v_add3_u32 v2, v6, v2, v4
	s_cbranch_vccnz .LBB0_9
; %bb.7:                                ;   in Loop: Header=BB0_2 Depth=1
	v_mov_b32_e32 v5, v7
	v_mov_b32_e32 v6, v8
	s_branch .LBB0_2
.LBB0_8:
	v_mov_b32_e32 v8, v6
	v_mov_b32_e32 v7, v5
.LBB0_9:
	s_lshl_b64 s[0:1], s[10:11], 3
	v_mul_hi_u32 v3, 0x253c826, v0
	s_add_u32 s0, s12, s0
	s_addc_u32 s1, s13, s1
	v_and_b32_e32 v6, 1, v9
	s_load_dwordx2 s[0:1], s[0:1], 0x0
	s_load_dwordx2 s[4:5], s[4:5], 0x20
	v_cmp_eq_u32_e32 vcc_lo, 1, v6
	v_mul_u32_u24_e32 v3, 0x6e, v3
	v_sub_nc_u32_e32 v44, v0, v3
	v_lshlrev_b32_e32 v89, 4, v44
	s_waitcnt lgkmcnt(0)
	v_mul_lo_u32 v4, s0, v8
	v_mul_lo_u32 v5, s1, v7
	v_mad_u64_u32 v[1:2], null, s0, v7, v[1:2]
	v_add3_u32 v2, v5, v2, v4
	v_cndmask_b32_e64 v4, 0, 0x303, vcc_lo
	v_cmp_gt_u64_e32 vcc_lo, s[4:5], v[7:8]
	v_lshlrev_b64 v[46:47], 4, v[1:2]
	v_lshlrev_b32_e32 v91, 4, v4
	s_and_saveexec_b32 s1, vcc_lo
	s_cbranch_execz .LBB0_11
; %bb.10:
	v_mov_b32_e32 v45, 0
	v_add_co_u32 v2, s0, s2, v46
	v_add_co_ci_u32_e64 v3, s0, s3, v47, s0
	v_lshlrev_b64 v[0:1], 4, v[44:45]
	v_add3_u32 v28, 0, v91, v89
	v_add_co_u32 v8, s0, v2, v0
	v_add_co_ci_u32_e64 v9, s0, v3, v1, s0
	s_clause 0x1
	global_load_dwordx4 v[0:3], v[8:9], off
	global_load_dwordx4 v[4:7], v[8:9], off offset:1760
	v_add_co_u32 v10, s0, 0x800, v8
	v_add_co_ci_u32_e64 v11, s0, 0, v9, s0
	v_add_co_u32 v12, s0, 0x1000, v8
	v_add_co_ci_u32_e64 v13, s0, 0, v9, s0
	;; [unrolled: 2-line block ×5, first 2 shown]
	s_clause 0x4
	global_load_dwordx4 v[8:11], v[10:11], off offset:1472
	global_load_dwordx4 v[12:15], v[12:13], off offset:1184
	;; [unrolled: 1-line block ×5, first 2 shown]
	s_waitcnt vmcnt(6)
	ds_write_b128 v28, v[0:3]
	s_waitcnt vmcnt(5)
	ds_write_b128 v28, v[4:7] offset:1760
	s_waitcnt vmcnt(4)
	ds_write_b128 v28, v[8:11] offset:3520
	;; [unrolled: 2-line block ×6, first 2 shown]
.LBB0_11:
	s_or_b32 exec_lo, exec_lo, s1
	v_add_nc_u32_e32 v45, 0, v91
	v_add_nc_u32_e32 v92, 0, v89
	s_waitcnt lgkmcnt(0)
	s_barrier
	buffer_gl0_inv
	v_add_nc_u32_e32 v88, v45, v89
	v_add_nc_u32_e32 v90, v92, v91
	s_mov_b32 s4, 0xf8bb580b
	s_mov_b32 s6, 0x8764f0ba
	;; [unrolled: 1-line block ×3, first 2 shown]
	ds_read_b128 v[0:3], v88
	ds_read_b128 v[4:7], v90 offset:1120
	ds_read_b128 v[8:11], v90 offset:2240
	;; [unrolled: 1-line block ×3, first 2 shown]
	s_mov_b32 s7, 0x3feaeb8c
	s_mov_b32 s14, 0x8eee2c13
	;; [unrolled: 1-line block ×18, first 2 shown]
	s_waitcnt lgkmcnt(2)
	v_add_f64 v[16:17], v[0:1], v[4:5]
	v_add_f64 v[18:19], v[2:3], v[6:7]
	s_mov_b32 s27, 0x3fefac9e
	s_mov_b32 s0, s22
	;; [unrolled: 1-line block ×3, first 2 shown]
	s_waitcnt lgkmcnt(1)
	v_add_f64 v[20:21], v[16:17], v[8:9]
	v_add_f64 v[22:23], v[18:19], v[10:11]
	ds_read_b128 v[16:19], v90 offset:11200
	s_waitcnt lgkmcnt(0)
	v_add_f64 v[40:41], v[6:7], -v[18:19]
	v_add_f64 v[32:33], v[20:21], v[12:13]
	v_add_f64 v[34:35], v[22:23], v[14:15]
	ds_read_b128 v[20:23], v90 offset:4480
	ds_read_b128 v[24:27], v90 offset:10080
	v_add_f64 v[42:43], v[6:7], v[18:19]
	ds_read_b128 v[28:31], v90 offset:5600
	v_add_f64 v[56:57], v[4:5], v[16:17]
	v_add_f64 v[58:59], v[4:5], -v[16:17]
	v_mul_f64 v[48:49], v[40:41], s[4:5]
	s_waitcnt lgkmcnt(2)
	v_add_f64 v[6:7], v[32:33], v[20:21]
	v_add_f64 v[36:37], v[34:35], v[22:23]
	ds_read_b128 v[32:35], v90 offset:8960
	s_waitcnt lgkmcnt(2)
	v_add_f64 v[93:94], v[10:11], v[26:27]
	v_add_f64 v[95:96], v[10:11], -v[26:27]
	v_mul_f64 v[52:53], v[42:43], s[6:7]
	v_add_f64 v[68:69], v[8:9], v[24:25]
	v_add_f64 v[70:71], v[8:9], -v[24:25]
	v_mul_f64 v[101:102], v[40:41], s[14:15]
	v_mul_f64 v[103:104], v[58:59], s[14:15]
	;; [unrolled: 1-line block ×5, first 2 shown]
	v_fma_f64 v[8:9], v[56:57], s[6:7], -v[48:49]
	s_waitcnt lgkmcnt(1)
	v_add_f64 v[10:11], v[6:7], v[28:29]
	v_add_f64 v[60:61], v[36:37], v[30:31]
	ds_read_b128 v[4:7], v90 offset:6720
	ds_read_b128 v[36:39], v90 offset:7840
	s_waitcnt lgkmcnt(2)
	v_add_f64 v[97:98], v[14:15], v[34:35]
	v_add_f64 v[14:15], v[14:15], -v[34:35]
	v_mul_f64 v[50:51], v[95:96], s[14:15]
	v_mul_f64 v[54:55], v[93:94], s[16:17]
	v_fma_f64 v[72:73], v[58:59], s[4:5], v[52:53]
	v_add_f64 v[64:65], v[12:13], v[32:33]
	v_add_f64 v[66:67], v[12:13], -v[32:33]
	v_fma_f64 v[107:108], v[42:43], s[16:17], v[103:104]
	v_fma_f64 v[103:104], v[42:43], s[16:17], -v[103:104]
	v_mul_f64 v[117:118], v[70:71], s[0:1]
	v_fma_f64 v[127:128], v[42:43], s[12:13], v[105:106]
	s_waitcnt lgkmcnt(0)
	s_barrier
	buffer_gl0_inv
	v_add_f64 v[8:9], v[0:1], v[8:9]
	v_add_f64 v[10:11], v[10:11], v[4:5]
	;; [unrolled: 1-line block ×4, first 2 shown]
	v_add_f64 v[22:23], v[22:23], -v[38:39]
	v_mul_f64 v[62:63], v[97:98], s[12:13]
	v_mul_f64 v[60:61], v[14:15], s[10:11]
	v_fma_f64 v[12:13], v[68:69], s[16:17], -v[50:51]
	v_fma_f64 v[80:81], v[70:71], s[14:15], v[54:55]
	v_add_f64 v[82:83], v[2:3], v[72:73]
	v_add_f64 v[76:77], v[20:21], v[36:37]
	v_add_f64 v[78:79], v[20:21], -v[36:37]
	v_add_f64 v[20:21], v[30:31], v[6:7]
	v_add_f64 v[30:31], v[30:31], -v[6:7]
	;; [unrolled: 2-line block ×3, first 2 shown]
	v_add_f64 v[107:108], v[2:3], v[107:108]
	v_add_f64 v[103:104], v[2:3], v[103:104]
	;; [unrolled: 1-line block ×4, first 2 shown]
	v_mul_f64 v[74:75], v[99:100], s[20:21]
	v_mul_f64 v[72:73], v[22:23], s[18:19]
	v_fma_f64 v[36:37], v[66:67], s[10:11], v[62:63]
	v_fma_f64 v[6:7], v[64:65], s[12:13], -v[60:61]
	v_add_f64 v[8:9], v[12:13], v[8:9]
	v_add_f64 v[12:13], v[80:81], v[82:83]
	v_mul_f64 v[82:83], v[20:21], s[24:25]
	v_mul_f64 v[80:81], v[30:31], s[22:23]
	v_add_f64 v[10:11], v[10:11], v[32:33]
	v_add_f64 v[32:33], v[38:39], v[34:35]
	v_fma_f64 v[28:29], v[78:79], s[18:19], v[74:75]
	v_fma_f64 v[4:5], v[76:77], s[20:21], -v[72:73]
	v_mul_f64 v[34:35], v[70:71], s[18:19]
	v_mul_f64 v[38:39], v[40:41], s[10:11]
	v_add_f64 v[6:7], v[6:7], v[8:9]
	v_add_f64 v[8:9], v[36:37], v[12:13]
	v_mul_f64 v[12:13], v[95:96], s[18:19]
	v_fma_f64 v[36:37], v[56:57], s[16:17], -v[101:102]
	v_fma_f64 v[111:112], v[86:87], s[22:23], v[82:83]
	v_fma_f64 v[109:110], v[84:85], s[24:25], -v[80:81]
	v_add_f64 v[10:11], v[10:11], v[24:25]
	v_add_f64 v[24:25], v[32:33], v[26:27]
	v_fma_f64 v[26:27], v[56:57], s[16:17], v[101:102]
	v_mul_f64 v[101:102], v[40:41], s[18:19]
	v_mul_f64 v[32:33], v[95:96], s[0:1]
	v_fma_f64 v[123:124], v[93:94], s[20:21], v[34:35]
	v_add_f64 v[113:114], v[4:5], v[6:7]
	v_fma_f64 v[125:126], v[56:57], s[12:13], -v[38:39]
	v_add_f64 v[28:29], v[28:29], v[8:9]
	v_fma_f64 v[121:122], v[68:69], s[20:21], -v[12:13]
	v_add_f64 v[36:37], v[0:1], v[36:37]
	v_fma_f64 v[12:13], v[68:69], s[20:21], v[12:13]
	v_fma_f64 v[34:35], v[93:94], s[20:21], -v[34:35]
	v_mul_f64 v[40:41], v[40:41], s[22:23]
	v_add_f64 v[4:5], v[10:11], v[16:17]
	v_add_f64 v[6:7], v[24:25], v[18:19]
	v_fma_f64 v[18:19], v[56:57], s[12:13], v[38:39]
	v_add_f64 v[24:25], v[0:1], v[26:27]
	v_mul_f64 v[26:27], v[95:96], s[26:27]
	v_fma_f64 v[38:39], v[42:43], s[12:13], -v[105:106]
	v_fma_f64 v[105:106], v[56:57], s[20:21], -v[101:102]
	v_mul_f64 v[16:17], v[14:15], s[0:1]
	v_add_f64 v[8:9], v[109:110], v[113:114]
	v_add_f64 v[10:11], v[111:112], v[28:29]
	v_fma_f64 v[28:29], v[42:43], s[20:21], v[115:116]
	v_fma_f64 v[109:110], v[42:43], s[20:21], -v[115:116]
	v_fma_f64 v[111:112], v[42:43], s[24:25], v[119:120]
	v_fma_f64 v[42:43], v[42:43], s[24:25], -v[119:120]
	v_mul_f64 v[113:114], v[70:71], s[26:27]
	v_add_f64 v[36:37], v[121:122], v[36:37]
	v_fma_f64 v[115:116], v[68:69], s[24:25], -v[32:33]
	v_add_f64 v[119:120], v[0:1], v[125:126]
	v_add_f64 v[107:108], v[123:124], v[107:108]
	v_fma_f64 v[121:122], v[93:94], s[24:25], v[117:118]
	v_add_f64 v[123:124], v[2:3], v[127:128]
	v_fma_f64 v[32:33], v[68:69], s[24:25], v[32:33]
	v_fma_f64 v[117:118], v[93:94], s[24:25], -v[117:118]
	v_fma_f64 v[101:102], v[56:57], s[20:21], v[101:102]
	v_add_f64 v[18:19], v[0:1], v[18:19]
	v_add_f64 v[12:13], v[12:13], v[24:25]
	v_fma_f64 v[24:25], v[68:69], s[12:13], -v[26:27]
	v_add_f64 v[38:39], v[2:3], v[38:39]
	v_add_f64 v[105:106], v[0:1], v[105:106]
	;; [unrolled: 1-line block ×3, first 2 shown]
	v_mul_f64 v[103:104], v[66:67], s[0:1]
	s_mov_b32 s1, 0x3fed1bb4
	s_mov_b32 s0, s14
	v_add_f64 v[28:29], v[2:3], v[28:29]
	v_fma_f64 v[26:27], v[68:69], s[12:13], v[26:27]
	v_add_f64 v[109:110], v[2:3], v[109:110]
	v_add_f64 v[111:112], v[2:3], v[111:112]
	;; [unrolled: 1-line block ×4, first 2 shown]
	v_mul_f64 v[119:120], v[14:15], s[0:1]
	v_add_f64 v[121:122], v[121:122], v[123:124]
	v_fma_f64 v[123:124], v[93:94], s[12:13], v[113:114]
	v_fma_f64 v[113:114], v[93:94], s[12:13], -v[113:114]
	v_add_f64 v[101:102], v[0:1], v[101:102]
	v_add_f64 v[18:19], v[32:33], v[18:19]
	v_mul_f64 v[32:33], v[66:67], s[0:1]
	v_add_f64 v[38:39], v[117:118], v[38:39]
	v_fma_f64 v[117:118], v[64:65], s[24:25], -v[16:17]
	v_add_f64 v[24:25], v[24:25], v[105:106]
	v_fma_f64 v[105:106], v[97:98], s[24:25], v[103:104]
	v_fma_f64 v[16:17], v[64:65], s[24:25], v[16:17]
	v_fma_f64 v[103:104], v[97:98], s[24:25], -v[103:104]
	v_add_f64 v[28:29], v[123:124], v[28:29]
	v_mul_f64 v[123:124], v[14:15], s[4:5]
	v_add_f64 v[26:27], v[26:27], v[101:102]
	v_fma_f64 v[101:102], v[64:65], s[16:17], -v[119:120]
	v_fma_f64 v[119:120], v[64:65], s[16:17], v[119:120]
	v_mul_f64 v[14:15], v[14:15], s[18:19]
	v_add_f64 v[109:110], v[113:114], v[109:110]
	v_add_f64 v[36:37], v[117:118], v[36:37]
	v_fma_f64 v[117:118], v[97:98], s[16:17], v[32:33]
	v_add_f64 v[105:106], v[105:106], v[107:108]
	v_mul_f64 v[107:108], v[22:23], s[26:27]
	v_fma_f64 v[32:33], v[97:98], s[16:17], -v[32:33]
	v_add_f64 v[12:13], v[16:17], v[12:13]
	v_mul_f64 v[16:17], v[78:79], s[26:27]
	v_add_f64 v[34:35], v[103:104], v[34:35]
	v_mul_f64 v[103:104], v[22:23], s[4:5]
	s_mov_b32 s27, 0x3fe14ced
	s_mov_b32 s26, s4
	v_mul_f64 v[95:96], v[95:96], s[26:27]
	v_add_f64 v[101:102], v[101:102], v[115:116]
	v_fma_f64 v[115:116], v[64:65], s[6:7], -v[123:124]
	v_add_f64 v[18:19], v[119:120], v[18:19]
	v_mul_f64 v[119:120], v[78:79], s[4:5]
	v_fma_f64 v[123:124], v[64:65], s[6:7], v[123:124]
	v_add_f64 v[117:118], v[117:118], v[121:122]
	v_fma_f64 v[121:122], v[76:77], s[12:13], -v[107:108]
	v_add_f64 v[32:33], v[32:33], v[38:39]
	v_fma_f64 v[107:108], v[76:77], s[12:13], v[107:108]
	v_fma_f64 v[38:39], v[99:100], s[12:13], v[16:17]
	v_fma_f64 v[16:17], v[99:100], s[12:13], -v[16:17]
	v_add_f64 v[24:25], v[115:116], v[24:25]
	v_fma_f64 v[115:116], v[76:77], s[6:7], -v[103:104]
	v_fma_f64 v[103:104], v[76:77], s[6:7], v[103:104]
	v_add_f64 v[26:27], v[123:124], v[26:27]
	v_mul_f64 v[123:124], v[30:31], s[18:19]
	v_add_f64 v[36:37], v[121:122], v[36:37]
	v_fma_f64 v[121:122], v[99:100], s[6:7], v[119:120]
	v_add_f64 v[107:108], v[107:108], v[12:13]
	v_add_f64 v[38:39], v[38:39], v[105:106]
	v_fma_f64 v[105:106], v[56:57], s[24:25], -v[40:41]
	v_mul_f64 v[12:13], v[70:71], s[26:27]
	v_fma_f64 v[40:41], v[56:57], s[24:25], v[40:41]
	v_add_f64 v[16:17], v[16:17], v[34:35]
	v_mul_f64 v[34:35], v[66:67], s[4:5]
	v_fma_f64 v[119:120], v[99:100], s[6:7], -v[119:120]
	v_add_f64 v[101:102], v[115:116], v[101:102]
	v_mul_f64 v[115:116], v[22:23], s[22:23]
	v_add_f64 v[18:19], v[103:104], v[18:19]
	v_mul_f64 v[22:23], v[22:23], s[0:1]
	v_add_f64 v[117:118], v[121:122], v[117:118]
	v_fma_f64 v[121:122], v[68:69], s[6:7], -v[95:96]
	v_fma_f64 v[95:96], v[68:69], s[6:7], v[95:96]
	v_add_f64 v[105:106], v[0:1], v[105:106]
	v_fma_f64 v[103:104], v[93:94], s[6:7], v[12:13]
	v_add_f64 v[40:41], v[0:1], v[40:41]
	v_fma_f64 v[12:13], v[93:94], s[6:7], -v[12:13]
	v_mul_f64 v[93:94], v[66:67], s[18:19]
	v_fma_f64 v[113:114], v[97:98], s[6:7], v[34:35]
	v_fma_f64 v[34:35], v[97:98], s[6:7], -v[34:35]
	v_add_f64 v[32:33], v[119:120], v[32:33]
	v_mul_f64 v[119:120], v[30:31], s[26:27]
	v_add_f64 v[105:106], v[121:122], v[105:106]
	v_fma_f64 v[121:122], v[76:77], s[24:25], -v[115:116]
	v_add_f64 v[103:104], v[103:104], v[111:112]
	v_mul_f64 v[111:112], v[78:79], s[22:23]
	v_add_f64 v[40:41], v[95:96], v[40:41]
	v_fma_f64 v[95:96], v[64:65], s[20:21], -v[14:15]
	v_add_f64 v[12:13], v[12:13], v[42:43]
	v_fma_f64 v[42:43], v[97:98], s[20:21], v[93:94]
	v_fma_f64 v[93:94], v[97:98], s[20:21], -v[93:94]
	v_fma_f64 v[14:15], v[64:65], s[20:21], v[14:15]
	v_mul_f64 v[97:98], v[78:79], s[0:1]
	v_add_f64 v[28:29], v[113:114], v[28:29]
	v_mul_f64 v[113:114], v[86:87], s[26:27]
	v_fma_f64 v[115:116], v[76:77], s[24:25], v[115:116]
	v_add_f64 v[34:35], v[34:35], v[109:110]
	v_mul_f64 v[109:110], v[86:87], s[18:19]
	v_add_f64 v[121:122], v[121:122], v[24:25]
	v_fma_f64 v[24:25], v[99:100], s[24:25], v[111:112]
	v_fma_f64 v[111:112], v[99:100], s[24:25], -v[111:112]
	v_add_f64 v[95:96], v[95:96], v[105:106]
	v_fma_f64 v[105:106], v[76:77], s[16:17], -v[22:23]
	v_add_f64 v[42:43], v[42:43], v[103:104]
	v_mul_f64 v[103:104], v[30:31], s[0:1]
	v_add_f64 v[14:15], v[14:15], v[40:41]
	v_fma_f64 v[40:41], v[99:100], s[16:17], v[97:98]
	v_add_f64 v[12:13], v[93:94], v[12:13]
	v_fma_f64 v[22:23], v[76:77], s[16:17], v[22:23]
	v_mul_f64 v[93:94], v[86:87], s[0:1]
	v_fma_f64 v[97:98], v[99:100], s[16:17], -v[97:98]
	v_mul_f64 v[99:100], v[86:87], s[10:11]
	v_mul_f64 v[30:31], v[30:31], s[10:11]
	v_add_f64 v[115:116], v[115:116], v[26:27]
	v_fma_f64 v[26:27], v[20:21], s[6:7], v[113:114]
	v_fma_f64 v[113:114], v[20:21], s[6:7], -v[113:114]
	s_mov_b32 s1, exec_lo
	v_add_f64 v[125:126], v[24:25], v[28:29]
	v_fma_f64 v[24:25], v[84:85], s[6:7], -v[119:120]
	v_fma_f64 v[28:29], v[84:85], s[6:7], v[119:120]
	v_add_f64 v[34:35], v[111:112], v[34:35]
	v_fma_f64 v[111:112], v[84:85], s[20:21], -v[123:124]
	v_add_f64 v[95:96], v[105:106], v[95:96]
	v_fma_f64 v[105:106], v[20:21], s[20:21], v[109:110]
	v_fma_f64 v[119:120], v[84:85], s[20:21], v[123:124]
	v_fma_f64 v[109:110], v[20:21], s[20:21], -v[109:110]
	v_add_f64 v[123:124], v[40:41], v[42:43]
	v_fma_f64 v[127:128], v[84:85], s[16:17], -v[103:104]
	v_add_f64 v[22:23], v[22:23], v[14:15]
	v_fma_f64 v[129:130], v[20:21], s[16:17], v[93:94]
	v_fma_f64 v[103:104], v[84:85], s[16:17], v[103:104]
	v_fma_f64 v[93:94], v[20:21], s[16:17], -v[93:94]
	v_add_f64 v[97:98], v[97:98], v[12:13]
	v_fma_f64 v[131:132], v[20:21], s[12:13], v[99:100]
	v_fma_f64 v[99:100], v[20:21], s[12:13], -v[99:100]
	v_fma_f64 v[20:21], v[84:85], s[12:13], -v[30:31]
	v_fma_f64 v[133:134], v[84:85], s[12:13], v[30:31]
	v_add_f64 v[14:15], v[26:27], v[38:39]
	v_add_f64 v[42:43], v[113:114], v[16:17]
	;; [unrolled: 1-line block ×16, first 2 shown]
	v_cmpx_gt_u32_e32 0x46, v44
	s_cbranch_execz .LBB0_13
; %bb.12:
	v_mul_f64 v[58:59], v[58:59], s[4:5]
	v_mul_f64 v[56:57], v[56:57], s[6:7]
	;; [unrolled: 1-line block ×4, first 2 shown]
	v_add_f64 v[52:53], v[52:53], -v[58:59]
	v_add_f64 v[48:49], v[56:57], v[48:49]
	v_mul_f64 v[56:57], v[64:65], s[12:13]
	v_mul_f64 v[58:59], v[66:67], s[10:11]
	v_add_f64 v[54:55], v[54:55], -v[70:71]
	v_add_f64 v[50:51], v[68:69], v[50:51]
	v_add_f64 v[2:3], v[2:3], v[52:53]
	v_add_f64 v[0:1], v[0:1], v[48:49]
	v_mul_f64 v[48:49], v[76:77], s[20:21]
	v_mul_f64 v[52:53], v[78:79], s[18:19]
	v_add_f64 v[58:59], v[62:63], -v[58:59]
	v_add_f64 v[56:57], v[56:57], v[60:61]
	v_add_f64 v[2:3], v[54:55], v[2:3]
	;; [unrolled: 6-line block ×3, first 2 shown]
	v_add_f64 v[0:1], v[56:57], v[0:1]
	v_add_f64 v[50:51], v[50:51], v[80:81]
	v_add_f64 v[54:55], v[82:83], -v[54:55]
	v_add_f64 v[2:3], v[52:53], v[2:3]
	v_add_f64 v[0:1], v[48:49], v[0:1]
	v_mul_u32_u24_e32 v48, 0xa0, v44
	v_add3_u32 v48, v92, v48, v91
	v_add_f64 v[2:3], v[54:55], v[2:3]
	v_add_f64 v[0:1], v[50:51], v[0:1]
	ds_write_b128 v48, v[4:7]
	ds_write_b128 v48, v[8:11] offset:16
	ds_write_b128 v48, v[12:15] offset:32
	;; [unrolled: 1-line block ×10, first 2 shown]
.LBB0_13:
	s_or_b32 exec_lo, exec_lo, s1
	v_cmp_gt_u32_e64 s0, 0x4d, v44
	s_waitcnt lgkmcnt(0)
	s_barrier
	buffer_gl0_inv
	s_and_saveexec_b32 s1, s0
	s_cbranch_execz .LBB0_15
; %bb.14:
	ds_read_b128 v[4:7], v88
	ds_read_b128 v[8:11], v90 offset:1232
	ds_read_b128 v[12:15], v90 offset:2464
	;; [unrolled: 1-line block ×9, first 2 shown]
.LBB0_15:
	s_or_b32 exec_lo, exec_lo, s1
	s_waitcnt lgkmcnt(0)
	s_barrier
	buffer_gl0_inv
	s_and_saveexec_b32 s16, s0
	s_cbranch_execz .LBB0_17
; %bb.16:
	v_and_b32_e32 v0, 0xff, v44
	s_mov_b32 s0, 0x134454ff
	s_mov_b32 s1, 0x3fee6f0e
	;; [unrolled: 1-line block ×4, first 2 shown]
	v_mul_lo_u16 v0, 0x75, v0
	s_mov_b32 s4, 0x4755a5e
	s_mov_b32 s5, 0x3fe2cf23
	;; [unrolled: 1-line block ×4, first 2 shown]
	v_lshrrev_b16 v0, 8, v0
	s_mov_b32 s6, 0x372fe950
	s_mov_b32 s7, 0x3fd3c6ef
	;; [unrolled: 1-line block ×4, first 2 shown]
	v_sub_nc_u16 v1, v44, v0
	v_lshrrev_b16 v1, 1, v1
	v_and_b32_e32 v1, 0x7f, v1
	v_add_nc_u16 v0, v1, v0
	v_mov_b32_e32 v1, 9
	v_lshrrev_b16 v118, 3, v0
	v_mul_lo_u16 v0, v118, 11
	v_sub_nc_u16 v0, v44, v0
	v_mul_u32_u24_sdwa v1, v0, v1 dst_sel:DWORD dst_unused:UNUSED_PAD src0_sel:BYTE_0 src1_sel:DWORD
	v_lshlrev_b32_e32 v1, 4, v1
	s_clause 0x8
	global_load_dwordx4 v[48:51], v1, s[8:9] offset:32
	global_load_dwordx4 v[52:55], v1, s[8:9] offset:64
	;; [unrolled: 1-line block ×8, first 2 shown]
	global_load_dwordx4 v[80:83], v1, s[8:9]
	s_waitcnt vmcnt(8)
	v_mul_f64 v[1:2], v[30:31], v[50:51]
	s_waitcnt vmcnt(7)
	v_mul_f64 v[84:85], v[34:35], v[54:55]
	v_mul_f64 v[50:51], v[28:29], v[50:51]
	;; [unrolled: 1-line block ×3, first 2 shown]
	s_waitcnt vmcnt(6)
	v_mul_f64 v[86:87], v[36:37], v[58:59]
	s_waitcnt vmcnt(5)
	v_mul_f64 v[92:93], v[40:41], v[62:63]
	v_mul_f64 v[62:63], v[42:43], v[62:63]
	;; [unrolled: 1-line block ×3, first 2 shown]
	s_waitcnt vmcnt(0)
	v_mul_f64 v[102:103], v[10:11], v[82:83]
	v_mul_f64 v[82:83], v[8:9], v[82:83]
	v_mul_f64 v[94:95], v[12:13], v[66:67]
	v_mul_f64 v[96:97], v[16:17], v[70:71]
	v_mul_f64 v[98:99], v[24:25], v[74:75]
	v_mul_f64 v[100:101], v[20:21], v[78:79]
	v_fma_f64 v[1:2], v[28:29], v[48:49], -v[1:2]
	v_fma_f64 v[28:29], v[32:33], v[52:53], -v[84:85]
	v_fma_f64 v[30:31], v[30:31], v[48:49], v[50:51]
	v_fma_f64 v[32:33], v[34:35], v[52:53], v[54:55]
	v_fma_f64 v[34:35], v[38:39], v[56:57], v[86:87]
	v_fma_f64 v[38:39], v[42:43], v[60:61], v[92:93]
	v_fma_f64 v[40:41], v[40:41], v[60:61], -v[62:63]
	v_fma_f64 v[36:37], v[36:37], v[56:57], -v[58:59]
	v_mul_f64 v[42:43], v[18:19], v[70:71]
	v_mul_f64 v[48:49], v[22:23], v[78:79]
	v_mul_f64 v[50:51], v[14:15], v[66:67]
	v_mul_f64 v[52:53], v[26:27], v[74:75]
	v_fma_f64 v[8:9], v[8:9], v[80:81], -v[102:103]
	v_fma_f64 v[10:11], v[10:11], v[80:81], v[82:83]
	v_fma_f64 v[14:15], v[14:15], v[64:65], v[94:95]
	;; [unrolled: 1-line block ×5, first 2 shown]
	v_add_f64 v[86:87], v[28:29], -v[1:2]
	v_add_f64 v[94:95], v[32:33], -v[30:31]
	v_add_f64 v[54:55], v[32:33], v[34:35]
	v_add_f64 v[56:57], v[30:31], v[38:39]
	;; [unrolled: 1-line block ×4, first 2 shown]
	v_fma_f64 v[16:17], v[16:17], v[68:69], -v[42:43]
	v_fma_f64 v[20:21], v[20:21], v[76:77], -v[48:49]
	;; [unrolled: 1-line block ×4, first 2 shown]
	v_add_f64 v[42:43], v[30:31], -v[38:39]
	v_add_f64 v[48:49], v[32:33], -v[34:35]
	;; [unrolled: 1-line block ×5, first 2 shown]
	v_add_f64 v[70:71], v[18:19], v[22:23]
	v_add_f64 v[74:75], v[40:41], -v[36:37]
	v_add_f64 v[76:77], v[30:31], -v[32:33]
	;; [unrolled: 1-line block ×3, first 2 shown]
	v_add_f64 v[84:85], v[14:15], v[26:27]
	v_add_f64 v[92:93], v[36:37], -v[40:41]
	v_add_f64 v[96:97], v[34:35], -v[38:39]
	v_add_f64 v[98:99], v[6:7], v[14:15]
	v_add_f64 v[1:2], v[8:9], v[1:2]
	v_fma_f64 v[54:55], v[54:55], -0.5, v[10:11]
	v_fma_f64 v[56:57], v[56:57], -0.5, v[10:11]
	;; [unrolled: 1-line block ×4, first 2 shown]
	v_add_f64 v[10:11], v[10:11], v[30:31]
	v_add_f64 v[106:107], v[16:17], v[20:21]
	;; [unrolled: 1-line block ×4, first 2 shown]
	v_add_f64 v[62:63], v[14:15], -v[18:19]
	v_add_f64 v[64:65], v[26:27], -v[22:23]
	;; [unrolled: 1-line block ×8, first 2 shown]
	v_fma_f64 v[8:9], v[70:71], -0.5, v[6:7]
	v_add_f64 v[70:71], v[72:73], v[74:75]
	v_add_f64 v[72:73], v[76:77], v[78:79]
	v_fma_f64 v[6:7], v[84:85], -0.5, v[6:7]
	v_add_f64 v[74:75], v[86:87], v[92:93]
	v_add_f64 v[76:77], v[94:95], v[96:97]
	v_fma_f64 v[30:31], v[52:53], s[0:1], v[54:55]
	v_fma_f64 v[100:101], v[50:51], s[12:13], v[56:57]
	;; [unrolled: 1-line block ×8, first 2 shown]
	v_fma_f64 v[92:93], v[106:107], -0.5, v[4:5]
	v_fma_f64 v[3:4], v[108:109], -0.5, v[4:5]
	v_add_f64 v[110:111], v[12:13], -v[16:17]
	v_add_f64 v[12:13], v[16:17], -v[12:13]
	v_add_f64 v[18:19], v[98:99], v[18:19]
	v_add_f64 v[10:11], v[10:11], v[32:33]
	;; [unrolled: 1-line block ×4, first 2 shown]
	v_add_f64 v[112:113], v[24:25], -v[20:21]
	v_add_f64 v[94:95], v[20:21], -v[24:25]
	v_fma_f64 v[28:29], v[68:69], s[0:1], v[8:9]
	v_fma_f64 v[32:33], v[66:67], s[12:13], v[6:7]
	v_fma_f64 v[5:6], v[66:67], s[0:1], v[6:7]
	v_fma_f64 v[7:8], v[68:69], s[12:13], v[8:9]
	v_fma_f64 v[30:31], v[50:51], s[4:5], v[30:31]
	v_fma_f64 v[78:79], v[52:53], s[4:5], v[100:101]
	v_fma_f64 v[84:85], v[42:43], s[4:5], v[102:103]
	v_fma_f64 v[86:87], v[48:49], s[4:5], v[104:105]
	v_fma_f64 v[50:51], v[50:51], s[14:15], v[54:55]
	v_fma_f64 v[52:53], v[52:53], s[14:15], v[56:57]
	v_fma_f64 v[42:43], v[42:43], s[14:15], v[58:59]
	v_fma_f64 v[48:49], v[48:49], s[14:15], v[60:61]
	v_add_f64 v[54:55], v[62:63], v[64:65]
	v_add_f64 v[56:57], v[80:81], v[82:83]
	v_fma_f64 v[80:81], v[14:15], s[0:1], v[92:93]
	v_fma_f64 v[64:65], v[14:15], s[12:13], v[92:93]
	v_add_f64 v[18:19], v[18:19], v[22:23]
	v_add_f64 v[9:10], v[10:11], v[34:35]
	;; [unrolled: 1-line block ×5, first 2 shown]
	v_fma_f64 v[20:21], v[66:67], s[4:5], v[28:29]
	v_fma_f64 v[22:23], v[68:69], s[4:5], v[32:33]
	;; [unrolled: 1-line block ×14, first 2 shown]
	v_add_f64 v[70:71], v[110:111], v[112:113]
	v_fma_f64 v[64:65], v[114:115], s[14:15], v[64:65]
	v_add_f64 v[18:19], v[18:19], v[26:27]
	v_add_f64 v[9:10], v[9:10], v[38:39]
	;; [unrolled: 1-line block ×4, first 2 shown]
	v_fma_f64 v[26:27], v[54:55], s[6:7], v[20:21]
	v_fma_f64 v[21:22], v[56:57], s[6:7], v[22:23]
	;; [unrolled: 1-line block ×4, first 2 shown]
	v_mul_f64 v[28:29], v[30:31], s[10:11]
	v_mul_f64 v[32:33], v[58:59], s[6:7]
	v_mul_f64 v[34:35], v[60:61], s[12:13]
	v_mul_f64 v[36:37], v[62:63], s[14:15]
	v_fma_f64 v[66:67], v[14:15], s[14:15], v[78:79]
	v_fma_f64 v[3:4], v[14:15], s[4:5], v[3:4]
	;; [unrolled: 1-line block ×3, first 2 shown]
	v_mul_f64 v[68:69], v[50:51], s[4:5]
	v_mul_f64 v[72:73], v[52:53], s[0:1]
	;; [unrolled: 1-line block ×4, first 2 shown]
	v_add_f64 v[7:8], v[18:19], v[9:10]
	v_add_f64 v[5:6], v[16:17], v[24:25]
	v_add_f64 v[1:2], v[16:17], -v[24:25]
	v_fma_f64 v[28:29], v[48:49], s[14:15], -v[28:29]
	v_fma_f64 v[32:33], v[42:43], s[12:13], -v[32:33]
	v_fma_f64 v[34:35], v[52:53], s[6:7], v[34:35]
	v_fma_f64 v[42:43], v[50:51], s[10:11], v[36:37]
	;; [unrolled: 1-line block ×7, first 2 shown]
	v_fma_f64 v[58:59], v[58:59], s[0:1], -v[74:75]
	v_fma_f64 v[48:49], v[70:71], s[6:7], v[64:65]
	v_fma_f64 v[60:61], v[30:31], s[4:5], -v[76:77]
	v_add_f64 v[3:4], v[18:19], -v[9:10]
	v_mov_b32_e32 v62, 4
	v_and_b32_e32 v63, 0xffff, v118
	v_lshlrev_b32_sdwa v0, v62, v0 dst_sel:DWORD dst_unused:UNUSED_PAD src0_sel:DWORD src1_sel:BYTE_0
	v_add_f64 v[11:12], v[26:27], -v[28:29]
	v_add_f64 v[15:16], v[21:22], -v[32:33]
	;; [unrolled: 1-line block ×4, first 2 shown]
	v_add_f64 v[35:36], v[38:39], v[34:35]
	v_add_f64 v[39:40], v[40:41], v[42:43]
	v_add_f64 v[31:32], v[21:22], v[32:33]
	v_add_f64 v[37:38], v[13:14], v[54:55]
	v_add_f64 v[33:34], v[52:53], v[56:57]
	v_add_f64 v[27:28], v[26:27], v[28:29]
	v_add_f64 v[29:30], v[50:51], v[58:59]
	v_add_f64 v[25:26], v[48:49], v[60:61]
	v_add_f64 v[21:22], v[13:14], -v[54:55]
	v_add_f64 v[17:18], v[52:53], -v[56:57]
	;; [unrolled: 1-line block ×4, first 2 shown]
	v_mad_u32_u24 v41, 0x6e0, v63, 0
	v_add3_u32 v0, v41, v0, v91
	ds_write_b128 v0, v[5:8]
	ds_write_b128 v0, v[1:4] offset:880
	ds_write_b128 v0, v[37:40] offset:176
	;; [unrolled: 1-line block ×9, first 2 shown]
.LBB0_17:
	s_or_b32 exec_lo, exec_lo, s16
	v_mul_u32_u24_e32 v0, 6, v44
	s_waitcnt lgkmcnt(0)
	s_barrier
	buffer_gl0_inv
	s_mov_b32 s0, 0x37e14327
	v_lshlrev_b32_e32 v20, 4, v0
	s_mov_b32 s1, 0x3fe948f6
	s_mov_b32 s4, 0x36b3c0b5
	;; [unrolled: 1-line block ×4, first 2 shown]
	s_clause 0x5
	global_load_dwordx4 v[0:3], v20, s[8:9] offset:1584
	global_load_dwordx4 v[4:7], v20, s[8:9] offset:1600
	;; [unrolled: 1-line block ×6, first 2 shown]
	ds_read_b128 v[24:27], v90 offset:1760
	ds_read_b128 v[28:31], v90 offset:3520
	ds_read_b128 v[32:35], v90 offset:10560
	ds_read_b128 v[36:39], v90 offset:8800
	ds_read_b128 v[40:43], v90 offset:5280
	ds_read_b128 v[48:51], v90 offset:7040
	s_mov_b32 s7, 0xbfe11646
	s_mov_b32 s11, 0x3fe77f67
	;; [unrolled: 1-line block ×5, first 2 shown]
	s_waitcnt vmcnt(5) lgkmcnt(5)
	v_mul_f64 v[52:53], v[26:27], v[2:3]
	v_mul_f64 v[2:3], v[24:25], v[2:3]
	s_waitcnt vmcnt(4) lgkmcnt(4)
	v_mul_f64 v[54:55], v[30:31], v[6:7]
	v_mul_f64 v[6:7], v[28:29], v[6:7]
	;; [unrolled: 3-line block ×6, first 2 shown]
	v_fma_f64 v[24:25], v[24:25], v[0:1], -v[52:53]
	v_fma_f64 v[0:1], v[26:27], v[0:1], v[2:3]
	v_fma_f64 v[2:3], v[28:29], v[4:5], -v[54:55]
	v_fma_f64 v[4:5], v[30:31], v[4:5], v[6:7]
	;; [unrolled: 2-line block ×6, first 2 shown]
	v_add_f64 v[22:23], v[24:25], v[6:7]
	v_add_f64 v[26:27], v[0:1], v[8:9]
	v_add_f64 v[28:29], v[2:3], v[10:11]
	v_add_f64 v[30:31], v[4:5], v[12:13]
	v_add_f64 v[10:11], v[2:3], -v[10:11]
	v_add_f64 v[4:5], v[4:5], -v[12:13]
	v_add_f64 v[32:33], v[14:15], v[18:19]
	v_add_f64 v[34:35], v[16:17], v[20:21]
	v_add_f64 v[12:13], v[18:19], -v[14:15]
	v_add_f64 v[14:15], v[20:21], -v[16:17]
	v_add_f64 v[6:7], v[24:25], -v[6:7]
	v_add_f64 v[8:9], v[0:1], -v[8:9]
	ds_read_b128 v[0:3], v88
	s_waitcnt lgkmcnt(0)
	s_barrier
	buffer_gl0_inv
	v_add_f64 v[16:17], v[28:29], v[22:23]
	v_add_f64 v[18:19], v[30:31], v[26:27]
	v_add_f64 v[20:21], v[22:23], -v[32:33]
	v_add_f64 v[24:25], v[26:27], -v[34:35]
	;; [unrolled: 1-line block ×10, first 2 shown]
	v_add_f64 v[10:11], v[12:13], v[10:11]
	v_add_f64 v[4:5], v[14:15], v[4:5]
	v_add_f64 v[12:13], v[6:7], -v[12:13]
	v_add_f64 v[14:15], v[8:9], -v[14:15]
	v_add_f64 v[16:17], v[32:33], v[16:17]
	v_add_f64 v[18:19], v[34:35], v[18:19]
	v_mul_f64 v[20:21], v[20:21], s[0:1]
	v_mul_f64 v[24:25], v[24:25], s[0:1]
	s_mov_b32 s0, 0x429ad128
	v_mul_f64 v[28:29], v[36:37], s[4:5]
	v_mul_f64 v[30:31], v[38:39], s[4:5]
	;; [unrolled: 1-line block ×4, first 2 shown]
	s_mov_b32 s1, 0x3febfeb5
	s_mov_b32 s6, 0xaaaaaaaa
	v_mul_f64 v[40:41], v[48:49], s[0:1]
	v_mul_f64 v[42:43], v[50:51], s[0:1]
	s_mov_b32 s7, 0xbff2aaaa
	v_add_f64 v[6:7], v[10:11], v[6:7]
	v_add_f64 v[4:5], v[4:5], v[8:9]
	;; [unrolled: 1-line block ×4, first 2 shown]
	v_fma_f64 v[8:9], v[36:37], s[4:5], v[20:21]
	v_fma_f64 v[10:11], v[38:39], s[4:5], v[24:25]
	s_mov_b32 s5, exec_lo
	v_fma_f64 v[28:29], v[22:23], s[10:11], -v[28:29]
	v_fma_f64 v[30:31], v[26:27], s[10:11], -v[30:31]
	s_mov_b32 s11, 0xbfe77f67
	v_fma_f64 v[36:37], v[12:13], s[12:13], v[32:33]
	v_fma_f64 v[38:39], v[14:15], s[12:13], v[34:35]
	s_mov_b32 s13, 0xbfd5d0dc
	v_fma_f64 v[20:21], v[22:23], s[10:11], -v[20:21]
	v_fma_f64 v[12:13], v[12:13], s[12:13], -v[40:41]
	;; [unrolled: 1-line block ×6, first 2 shown]
	s_mov_b32 s0, 0x37c3f68c
	s_mov_b32 s1, 0x3fdc38aa
	v_fma_f64 v[16:17], v[16:17], s[6:7], v[0:1]
	v_fma_f64 v[18:19], v[18:19], s[6:7], v[2:3]
	;; [unrolled: 1-line block ×8, first 2 shown]
	s_add_u32 s1, s8, 0x2f70
	s_addc_u32 s4, s9, 0
	v_add_f64 v[40:41], v[8:9], v[16:17]
	v_add_f64 v[42:43], v[10:11], v[18:19]
	;; [unrolled: 1-line block ×7, first 2 shown]
	v_add_f64 v[6:7], v[42:43], -v[26:27]
	v_add_f64 v[8:9], v[38:39], v[20:21]
	v_add_f64 v[10:11], v[22:23], -v[36:37]
	v_add_f64 v[12:13], v[16:17], -v[34:35]
	v_add_f64 v[14:15], v[32:33], v[18:19]
	v_add_f64 v[16:17], v[34:35], v[16:17]
	v_add_f64 v[18:19], v[18:19], -v[32:33]
	v_add_f64 v[20:21], v[20:21], -v[38:39]
	v_add_f64 v[22:23], v[36:37], v[22:23]
	v_add_f64 v[24:25], v[40:41], -v[24:25]
	v_add_f64 v[26:27], v[26:27], v[42:43]
	ds_write_b128 v90, v[0:3]
	ds_write_b128 v90, v[4:7] offset:1760
	ds_write_b128 v90, v[8:11] offset:3520
	;; [unrolled: 1-line block ×6, first 2 shown]
	s_waitcnt lgkmcnt(0)
	s_barrier
	buffer_gl0_inv
	ds_read_b128 v[4:7], v88
	v_sub_nc_u32_e32 v12, v45, v89
                                        ; implicit-def: $vgpr2_vgpr3
                                        ; implicit-def: $vgpr8_vgpr9
                                        ; implicit-def: $vgpr10_vgpr11
	v_cmpx_ne_u32_e32 0, v44
	s_xor_b32 s5, exec_lo, s5
	s_cbranch_execz .LBB0_19
; %bb.18:
	v_mov_b32_e32 v45, 0
	v_lshlrev_b64 v[0:1], 4, v[44:45]
	v_add_co_u32 v0, s0, s1, v0
	v_add_co_ci_u32_e64 v1, s0, s4, v1, s0
	global_load_dwordx4 v[13:16], v[0:1], off
	ds_read_b128 v[0:3], v12 offset:12320
	s_waitcnt lgkmcnt(0)
	v_add_f64 v[8:9], v[4:5], -v[0:1]
	v_add_f64 v[10:11], v[6:7], v[2:3]
	v_add_f64 v[2:3], v[6:7], -v[2:3]
	v_add_f64 v[0:1], v[4:5], v[0:1]
	v_mul_f64 v[6:7], v[8:9], 0.5
	v_mul_f64 v[4:5], v[10:11], 0.5
	v_mul_f64 v[2:3], v[2:3], 0.5
	s_waitcnt vmcnt(0)
	v_mul_f64 v[8:9], v[6:7], v[15:16]
	v_fma_f64 v[10:11], v[4:5], v[15:16], v[2:3]
	v_fma_f64 v[2:3], v[4:5], v[15:16], -v[2:3]
	v_fma_f64 v[17:18], v[0:1], 0.5, v[8:9]
	v_fma_f64 v[0:1], v[0:1], 0.5, -v[8:9]
	v_fma_f64 v[8:9], -v[13:14], v[6:7], v[10:11]
	v_mov_b32_e32 v10, v44
	v_fma_f64 v[2:3], -v[13:14], v[6:7], v[2:3]
	v_mov_b32_e32 v11, v45
                                        ; implicit-def: $vgpr45
	v_fma_f64 v[15:16], v[4:5], v[13:14], v[17:18]
	v_fma_f64 v[0:1], -v[4:5], v[13:14], v[0:1]
                                        ; implicit-def: $vgpr4_vgpr5
	ds_write_b64 v88, v[15:16]
.LBB0_19:
	s_andn2_saveexec_b32 s0, s5
	s_cbranch_execz .LBB0_21
; %bb.20:
	ds_read_b64 v[13:14], v45 offset:6168
	s_waitcnt lgkmcnt(1)
	v_add_f64 v[15:16], v[4:5], v[6:7]
	v_add_f64 v[0:1], v[4:5], -v[6:7]
	v_mov_b32_e32 v8, 0
	v_mov_b32_e32 v9, 0
	;; [unrolled: 1-line block ×6, first 2 shown]
	s_waitcnt lgkmcnt(0)
	v_xor_b32_e32 v14, 0x80000000, v14
	ds_write_b64 v88, v[15:16]
	ds_write_b64 v45, v[13:14] offset:6168
.LBB0_21:
	s_or_b32 exec_lo, exec_lo, s0
	s_waitcnt lgkmcnt(0)
	v_lshlrev_b64 v[4:5], 4, v[10:11]
	v_add_co_u32 v6, s0, s1, v4
	v_add_co_ci_u32_e64 v7, s0, s4, v5, s0
	s_mov_b32 s1, exec_lo
	v_add_co_u32 v10, s0, 0x800, v6
	global_load_dwordx4 v[13:16], v[6:7], off offset:1760
	v_add_co_ci_u32_e64 v11, s0, 0, v7, s0
	global_load_dwordx4 v[17:20], v[10:11], off offset:1472
	ds_write_b64 v88, v[8:9] offset:8
	ds_write_b128 v12, v[0:3] offset:12320
	ds_read_b128 v[0:3], v88 offset:1760
	ds_read_b128 v[8:11], v12 offset:10560
	s_waitcnt lgkmcnt(0)
	v_add_f64 v[21:22], v[0:1], -v[8:9]
	v_add_f64 v[23:24], v[2:3], v[10:11]
	v_add_f64 v[2:3], v[2:3], -v[10:11]
	v_add_f64 v[0:1], v[0:1], v[8:9]
	v_mul_f64 v[10:11], v[21:22], 0.5
	v_mul_f64 v[21:22], v[23:24], 0.5
	;; [unrolled: 1-line block ×3, first 2 shown]
	s_waitcnt vmcnt(1)
	v_mul_f64 v[8:9], v[10:11], v[15:16]
	v_fma_f64 v[23:24], v[21:22], v[15:16], v[2:3]
	v_fma_f64 v[15:16], v[21:22], v[15:16], -v[2:3]
	v_fma_f64 v[25:26], v[0:1], 0.5, v[8:9]
	v_fma_f64 v[8:9], v[0:1], 0.5, -v[8:9]
	v_fma_f64 v[2:3], -v[13:14], v[10:11], v[23:24]
	v_fma_f64 v[10:11], -v[13:14], v[10:11], v[15:16]
	v_fma_f64 v[0:1], v[21:22], v[13:14], v[25:26]
	v_fma_f64 v[8:9], -v[21:22], v[13:14], v[8:9]
	ds_write_b128 v88, v[0:3] offset:1760
	ds_write_b128 v12, v[8:11] offset:10560
	ds_read_b128 v[0:3], v88 offset:3520
	ds_read_b128 v[8:11], v12 offset:8800
	s_waitcnt lgkmcnt(0)
	v_add_f64 v[13:14], v[0:1], -v[8:9]
	v_add_f64 v[15:16], v[2:3], v[10:11]
	v_add_f64 v[2:3], v[2:3], -v[10:11]
	v_add_f64 v[0:1], v[0:1], v[8:9]
	v_mul_f64 v[10:11], v[13:14], 0.5
	v_mul_f64 v[13:14], v[15:16], 0.5
	v_mul_f64 v[2:3], v[2:3], 0.5
	s_waitcnt vmcnt(0)
	v_mul_f64 v[8:9], v[10:11], v[19:20]
	v_fma_f64 v[15:16], v[13:14], v[19:20], v[2:3]
	v_fma_f64 v[19:20], v[13:14], v[19:20], -v[2:3]
	v_fma_f64 v[21:22], v[0:1], 0.5, v[8:9]
	v_fma_f64 v[8:9], v[0:1], 0.5, -v[8:9]
	v_fma_f64 v[2:3], -v[17:18], v[10:11], v[15:16]
	v_fma_f64 v[10:11], -v[17:18], v[10:11], v[19:20]
	v_fma_f64 v[0:1], v[13:14], v[17:18], v[21:22]
	v_fma_f64 v[8:9], -v[13:14], v[17:18], v[8:9]
	ds_write_b128 v88, v[0:3] offset:3520
	ds_write_b128 v12, v[8:11] offset:8800
	v_cmpx_gt_u32_e32 55, v44
	s_cbranch_execz .LBB0_23
; %bb.22:
	v_add_co_u32 v0, s0, 0x1000, v6
	v_add_co_ci_u32_e64 v1, s0, 0, v7, s0
	global_load_dwordx4 v[0:3], v[0:1], off offset:1184
	ds_read_b128 v[6:9], v88 offset:5280
	ds_read_b128 v[13:16], v12 offset:7040
	s_waitcnt lgkmcnt(0)
	v_add_f64 v[10:11], v[6:7], -v[13:14]
	v_add_f64 v[17:18], v[8:9], v[15:16]
	v_add_f64 v[8:9], v[8:9], -v[15:16]
	v_add_f64 v[6:7], v[6:7], v[13:14]
	v_mul_f64 v[10:11], v[10:11], 0.5
	v_mul_f64 v[15:16], v[17:18], 0.5
	;; [unrolled: 1-line block ×3, first 2 shown]
	s_waitcnt vmcnt(0)
	v_mul_f64 v[13:14], v[10:11], v[2:3]
	v_fma_f64 v[17:18], v[15:16], v[2:3], v[8:9]
	v_fma_f64 v[2:3], v[15:16], v[2:3], -v[8:9]
	v_fma_f64 v[19:20], v[6:7], 0.5, v[13:14]
	v_fma_f64 v[13:14], v[6:7], 0.5, -v[13:14]
	v_fma_f64 v[8:9], -v[0:1], v[10:11], v[17:18]
	v_fma_f64 v[2:3], -v[0:1], v[10:11], v[2:3]
	v_fma_f64 v[6:7], v[15:16], v[0:1], v[19:20]
	v_fma_f64 v[0:1], -v[15:16], v[0:1], v[13:14]
	ds_write_b128 v88, v[6:9] offset:5280
	ds_write_b128 v12, v[0:3] offset:7040
.LBB0_23:
	s_or_b32 exec_lo, exec_lo, s1
	s_waitcnt lgkmcnt(0)
	s_barrier
	buffer_gl0_inv
	s_and_saveexec_b32 s0, vcc_lo
	s_cbranch_execz .LBB0_26
; %bb.24:
	ds_read_b128 v[6:9], v88
	ds_read_b128 v[10:13], v88 offset:1760
	ds_read_b128 v[14:17], v88 offset:3520
	v_add_co_u32 v0, vcc_lo, s2, v46
	v_add_co_ci_u32_e32 v1, vcc_lo, s3, v47, vcc_lo
	v_add_co_u32 v26, vcc_lo, v0, v4
	v_add_co_ci_u32_e32 v27, vcc_lo, v1, v5, vcc_lo
	ds_read_b128 v[2:5], v88 offset:5280
	v_add_co_u32 v28, vcc_lo, 0x800, v26
	v_add_co_ci_u32_e32 v29, vcc_lo, 0, v27, vcc_lo
	ds_read_b128 v[18:21], v88 offset:7040
	ds_read_b128 v[22:25], v88 offset:8800
	s_waitcnt lgkmcnt(5)
	global_store_dwordx4 v[26:27], v[6:9], off
	s_waitcnt lgkmcnt(4)
	global_store_dwordx4 v[26:27], v[10:13], off offset:1760
	s_waitcnt lgkmcnt(3)
	global_store_dwordx4 v[28:29], v[14:17], off offset:1472
	ds_read_b128 v[6:9], v88 offset:10560
	v_add_co_u32 v10, vcc_lo, 0x1000, v26
	v_add_co_ci_u32_e32 v11, vcc_lo, 0, v27, vcc_lo
	v_add_co_u32 v12, vcc_lo, 0x1800, v26
	v_add_co_ci_u32_e32 v13, vcc_lo, 0, v27, vcc_lo
	;; [unrolled: 2-line block ×4, first 2 shown]
	v_cmp_eq_u32_e32 vcc_lo, 0x6d, v44
	s_waitcnt lgkmcnt(3)
	global_store_dwordx4 v[10:11], v[2:5], off offset:1184
	s_waitcnt lgkmcnt(2)
	global_store_dwordx4 v[12:13], v[18:21], off offset:896
	;; [unrolled: 2-line block ×4, first 2 shown]
	s_and_b32 exec_lo, exec_lo, vcc_lo
	s_cbranch_execz .LBB0_26
; %bb.25:
	ds_read_b128 v[2:5], v88 offset:10576
	v_add_co_u32 v0, vcc_lo, 0x3000, v0
	v_add_co_ci_u32_e32 v1, vcc_lo, 0, v1, vcc_lo
	s_waitcnt lgkmcnt(0)
	global_store_dwordx4 v[0:1], v[2:5], off offset:32
.LBB0_26:
	s_endpgm
	.section	.rodata,"a",@progbits
	.p2align	6, 0x0
	.amdhsa_kernel fft_rtc_fwd_len770_factors_11_10_7_wgs_220_tpt_110_dp_ip_CI_unitstride_sbrr_R2C_dirReg
		.amdhsa_group_segment_fixed_size 0
		.amdhsa_private_segment_fixed_size 0
		.amdhsa_kernarg_size 88
		.amdhsa_user_sgpr_count 6
		.amdhsa_user_sgpr_private_segment_buffer 1
		.amdhsa_user_sgpr_dispatch_ptr 0
		.amdhsa_user_sgpr_queue_ptr 0
		.amdhsa_user_sgpr_kernarg_segment_ptr 1
		.amdhsa_user_sgpr_dispatch_id 0
		.amdhsa_user_sgpr_flat_scratch_init 0
		.amdhsa_user_sgpr_private_segment_size 0
		.amdhsa_wavefront_size32 1
		.amdhsa_uses_dynamic_stack 0
		.amdhsa_system_sgpr_private_segment_wavefront_offset 0
		.amdhsa_system_sgpr_workgroup_id_x 1
		.amdhsa_system_sgpr_workgroup_id_y 0
		.amdhsa_system_sgpr_workgroup_id_z 0
		.amdhsa_system_sgpr_workgroup_info 0
		.amdhsa_system_vgpr_workitem_id 0
		.amdhsa_next_free_vgpr 135
		.amdhsa_next_free_sgpr 28
		.amdhsa_reserve_vcc 1
		.amdhsa_reserve_flat_scratch 0
		.amdhsa_float_round_mode_32 0
		.amdhsa_float_round_mode_16_64 0
		.amdhsa_float_denorm_mode_32 3
		.amdhsa_float_denorm_mode_16_64 3
		.amdhsa_dx10_clamp 1
		.amdhsa_ieee_mode 1
		.amdhsa_fp16_overflow 0
		.amdhsa_workgroup_processor_mode 1
		.amdhsa_memory_ordered 1
		.amdhsa_forward_progress 0
		.amdhsa_shared_vgpr_count 0
		.amdhsa_exception_fp_ieee_invalid_op 0
		.amdhsa_exception_fp_denorm_src 0
		.amdhsa_exception_fp_ieee_div_zero 0
		.amdhsa_exception_fp_ieee_overflow 0
		.amdhsa_exception_fp_ieee_underflow 0
		.amdhsa_exception_fp_ieee_inexact 0
		.amdhsa_exception_int_div_zero 0
	.end_amdhsa_kernel
	.text
.Lfunc_end0:
	.size	fft_rtc_fwd_len770_factors_11_10_7_wgs_220_tpt_110_dp_ip_CI_unitstride_sbrr_R2C_dirReg, .Lfunc_end0-fft_rtc_fwd_len770_factors_11_10_7_wgs_220_tpt_110_dp_ip_CI_unitstride_sbrr_R2C_dirReg
                                        ; -- End function
	.section	.AMDGPU.csdata,"",@progbits
; Kernel info:
; codeLenInByte = 8904
; NumSgprs: 30
; NumVgprs: 135
; ScratchSize: 0
; MemoryBound: 0
; FloatMode: 240
; IeeeMode: 1
; LDSByteSize: 0 bytes/workgroup (compile time only)
; SGPRBlocks: 3
; VGPRBlocks: 16
; NumSGPRsForWavesPerEU: 30
; NumVGPRsForWavesPerEU: 135
; Occupancy: 7
; WaveLimiterHint : 1
; COMPUTE_PGM_RSRC2:SCRATCH_EN: 0
; COMPUTE_PGM_RSRC2:USER_SGPR: 6
; COMPUTE_PGM_RSRC2:TRAP_HANDLER: 0
; COMPUTE_PGM_RSRC2:TGID_X_EN: 1
; COMPUTE_PGM_RSRC2:TGID_Y_EN: 0
; COMPUTE_PGM_RSRC2:TGID_Z_EN: 0
; COMPUTE_PGM_RSRC2:TIDIG_COMP_CNT: 0
	.text
	.p2alignl 6, 3214868480
	.fill 48, 4, 3214868480
	.type	__hip_cuid_23e5b096b70d36ec,@object ; @__hip_cuid_23e5b096b70d36ec
	.section	.bss,"aw",@nobits
	.globl	__hip_cuid_23e5b096b70d36ec
__hip_cuid_23e5b096b70d36ec:
	.byte	0                               ; 0x0
	.size	__hip_cuid_23e5b096b70d36ec, 1

	.ident	"AMD clang version 19.0.0git (https://github.com/RadeonOpenCompute/llvm-project roc-6.4.0 25133 c7fe45cf4b819c5991fe208aaa96edf142730f1d)"
	.section	".note.GNU-stack","",@progbits
	.addrsig
	.addrsig_sym __hip_cuid_23e5b096b70d36ec
	.amdgpu_metadata
---
amdhsa.kernels:
  - .args:
      - .actual_access:  read_only
        .address_space:  global
        .offset:         0
        .size:           8
        .value_kind:     global_buffer
      - .offset:         8
        .size:           8
        .value_kind:     by_value
      - .actual_access:  read_only
        .address_space:  global
        .offset:         16
        .size:           8
        .value_kind:     global_buffer
      - .actual_access:  read_only
        .address_space:  global
        .offset:         24
        .size:           8
        .value_kind:     global_buffer
      - .offset:         32
        .size:           8
        .value_kind:     by_value
      - .actual_access:  read_only
        .address_space:  global
        .offset:         40
        .size:           8
        .value_kind:     global_buffer
      - .actual_access:  read_only
        .address_space:  global
        .offset:         48
        .size:           8
        .value_kind:     global_buffer
      - .offset:         56
        .size:           4
        .value_kind:     by_value
      - .actual_access:  read_only
        .address_space:  global
        .offset:         64
        .size:           8
        .value_kind:     global_buffer
      - .actual_access:  read_only
        .address_space:  global
        .offset:         72
        .size:           8
        .value_kind:     global_buffer
      - .address_space:  global
        .offset:         80
        .size:           8
        .value_kind:     global_buffer
    .group_segment_fixed_size: 0
    .kernarg_segment_align: 8
    .kernarg_segment_size: 88
    .language:       OpenCL C
    .language_version:
      - 2
      - 0
    .max_flat_workgroup_size: 220
    .name:           fft_rtc_fwd_len770_factors_11_10_7_wgs_220_tpt_110_dp_ip_CI_unitstride_sbrr_R2C_dirReg
    .private_segment_fixed_size: 0
    .sgpr_count:     30
    .sgpr_spill_count: 0
    .symbol:         fft_rtc_fwd_len770_factors_11_10_7_wgs_220_tpt_110_dp_ip_CI_unitstride_sbrr_R2C_dirReg.kd
    .uniform_work_group_size: 1
    .uses_dynamic_stack: false
    .vgpr_count:     135
    .vgpr_spill_count: 0
    .wavefront_size: 32
    .workgroup_processor_mode: 1
amdhsa.target:   amdgcn-amd-amdhsa--gfx1030
amdhsa.version:
  - 1
  - 2
...

	.end_amdgpu_metadata
